;; amdgpu-corpus repo=ROCm/rocFFT kind=compiled arch=gfx1030 opt=O3
	.text
	.amdgcn_target "amdgcn-amd-amdhsa--gfx1030"
	.amdhsa_code_object_version 6
	.protected	fft_rtc_back_len1620_factors_10_3_3_6_3_wgs_162_tpt_162_halfLds_half_op_CI_CI_unitstride_sbrr_R2C_dirReg ; -- Begin function fft_rtc_back_len1620_factors_10_3_3_6_3_wgs_162_tpt_162_halfLds_half_op_CI_CI_unitstride_sbrr_R2C_dirReg
	.globl	fft_rtc_back_len1620_factors_10_3_3_6_3_wgs_162_tpt_162_halfLds_half_op_CI_CI_unitstride_sbrr_R2C_dirReg
	.p2align	8
	.type	fft_rtc_back_len1620_factors_10_3_3_6_3_wgs_162_tpt_162_halfLds_half_op_CI_CI_unitstride_sbrr_R2C_dirReg,@function
fft_rtc_back_len1620_factors_10_3_3_6_3_wgs_162_tpt_162_halfLds_half_op_CI_CI_unitstride_sbrr_R2C_dirReg: ; @fft_rtc_back_len1620_factors_10_3_3_6_3_wgs_162_tpt_162_halfLds_half_op_CI_CI_unitstride_sbrr_R2C_dirReg
; %bb.0:
	s_clause 0x2
	s_load_dwordx4 s[12:15], s[4:5], 0x0
	s_load_dwordx4 s[8:11], s[4:5], 0x58
	;; [unrolled: 1-line block ×3, first 2 shown]
	v_mul_u32_u24_e32 v1, 0x195, v0
	v_mov_b32_e32 v3, 0
	v_mov_b32_e32 v11, 0
	;; [unrolled: 1-line block ×3, first 2 shown]
	v_add_nc_u32_sdwa v7, s6, v1 dst_sel:DWORD dst_unused:UNUSED_PAD src0_sel:DWORD src1_sel:WORD_1
	v_mov_b32_e32 v8, v3
	s_waitcnt lgkmcnt(0)
	v_cmp_lt_u64_e64 s0, s[14:15], 2
	s_and_b32 vcc_lo, exec_lo, s0
	s_cbranch_vccnz .LBB0_8
; %bb.1:
	s_load_dwordx2 s[0:1], s[4:5], 0x10
	v_mov_b32_e32 v11, 0
	v_mov_b32_e32 v12, 0
	s_add_u32 s2, s18, 8
	s_addc_u32 s3, s19, 0
	v_mov_b32_e32 v1, v11
	s_add_u32 s6, s16, 8
	v_mov_b32_e32 v2, v12
	s_addc_u32 s7, s17, 0
	s_mov_b64 s[22:23], 1
	s_waitcnt lgkmcnt(0)
	s_add_u32 s20, s0, 8
	s_addc_u32 s21, s1, 0
.LBB0_2:                                ; =>This Inner Loop Header: Depth=1
	s_load_dwordx2 s[24:25], s[20:21], 0x0
                                        ; implicit-def: $vgpr5_vgpr6
	s_mov_b32 s0, exec_lo
	s_waitcnt lgkmcnt(0)
	v_or_b32_e32 v4, s25, v8
	v_cmpx_ne_u64_e32 0, v[3:4]
	s_xor_b32 s1, exec_lo, s0
	s_cbranch_execz .LBB0_4
; %bb.3:                                ;   in Loop: Header=BB0_2 Depth=1
	v_cvt_f32_u32_e32 v4, s24
	v_cvt_f32_u32_e32 v5, s25
	s_sub_u32 s0, 0, s24
	s_subb_u32 s26, 0, s25
	v_fmac_f32_e32 v4, 0x4f800000, v5
	v_rcp_f32_e32 v4, v4
	v_mul_f32_e32 v4, 0x5f7ffffc, v4
	v_mul_f32_e32 v5, 0x2f800000, v4
	v_trunc_f32_e32 v5, v5
	v_fmac_f32_e32 v4, 0xcf800000, v5
	v_cvt_u32_f32_e32 v5, v5
	v_cvt_u32_f32_e32 v4, v4
	v_mul_lo_u32 v6, s0, v5
	v_mul_hi_u32 v9, s0, v4
	v_mul_lo_u32 v10, s26, v4
	v_add_nc_u32_e32 v6, v9, v6
	v_mul_lo_u32 v9, s0, v4
	v_add_nc_u32_e32 v6, v6, v10
	v_mul_hi_u32 v10, v4, v9
	v_mul_lo_u32 v13, v4, v6
	v_mul_hi_u32 v14, v4, v6
	v_mul_hi_u32 v15, v5, v9
	v_mul_lo_u32 v9, v5, v9
	v_mul_hi_u32 v16, v5, v6
	v_mul_lo_u32 v6, v5, v6
	v_add_co_u32 v10, vcc_lo, v10, v13
	v_add_co_ci_u32_e32 v13, vcc_lo, 0, v14, vcc_lo
	v_add_co_u32 v9, vcc_lo, v10, v9
	v_add_co_ci_u32_e32 v9, vcc_lo, v13, v15, vcc_lo
	v_add_co_ci_u32_e32 v10, vcc_lo, 0, v16, vcc_lo
	v_add_co_u32 v6, vcc_lo, v9, v6
	v_add_co_ci_u32_e32 v9, vcc_lo, 0, v10, vcc_lo
	v_add_co_u32 v4, vcc_lo, v4, v6
	v_add_co_ci_u32_e32 v5, vcc_lo, v5, v9, vcc_lo
	v_mul_hi_u32 v6, s0, v4
	v_mul_lo_u32 v10, s26, v4
	v_mul_lo_u32 v9, s0, v5
	v_add_nc_u32_e32 v6, v6, v9
	v_mul_lo_u32 v9, s0, v4
	v_add_nc_u32_e32 v6, v6, v10
	v_mul_hi_u32 v10, v4, v9
	v_mul_lo_u32 v13, v4, v6
	v_mul_hi_u32 v14, v4, v6
	v_mul_hi_u32 v15, v5, v9
	v_mul_lo_u32 v9, v5, v9
	v_mul_hi_u32 v16, v5, v6
	v_mul_lo_u32 v6, v5, v6
	v_add_co_u32 v10, vcc_lo, v10, v13
	v_add_co_ci_u32_e32 v13, vcc_lo, 0, v14, vcc_lo
	v_add_co_u32 v9, vcc_lo, v10, v9
	v_add_co_ci_u32_e32 v9, vcc_lo, v13, v15, vcc_lo
	v_add_co_ci_u32_e32 v10, vcc_lo, 0, v16, vcc_lo
	v_add_co_u32 v6, vcc_lo, v9, v6
	v_add_co_ci_u32_e32 v9, vcc_lo, 0, v10, vcc_lo
	v_add_co_u32 v6, vcc_lo, v4, v6
	v_add_co_ci_u32_e32 v13, vcc_lo, v5, v9, vcc_lo
	v_mul_hi_u32 v15, v7, v6
	v_mad_u64_u32 v[9:10], null, v8, v6, 0
	v_mad_u64_u32 v[4:5], null, v7, v13, 0
	;; [unrolled: 1-line block ×3, first 2 shown]
	v_add_co_u32 v4, vcc_lo, v15, v4
	v_add_co_ci_u32_e32 v5, vcc_lo, 0, v5, vcc_lo
	v_add_co_u32 v4, vcc_lo, v4, v9
	v_add_co_ci_u32_e32 v4, vcc_lo, v5, v10, vcc_lo
	v_add_co_ci_u32_e32 v5, vcc_lo, 0, v14, vcc_lo
	v_add_co_u32 v9, vcc_lo, v4, v13
	v_add_co_ci_u32_e32 v6, vcc_lo, 0, v5, vcc_lo
	v_mul_lo_u32 v10, s25, v9
	v_mad_u64_u32 v[4:5], null, s24, v9, 0
	v_mul_lo_u32 v13, s24, v6
	v_sub_co_u32 v4, vcc_lo, v7, v4
	v_add3_u32 v5, v5, v13, v10
	v_sub_nc_u32_e32 v10, v8, v5
	v_subrev_co_ci_u32_e64 v10, s0, s25, v10, vcc_lo
	v_add_co_u32 v13, s0, v9, 2
	v_add_co_ci_u32_e64 v14, s0, 0, v6, s0
	v_sub_co_u32 v15, s0, v4, s24
	v_sub_co_ci_u32_e32 v5, vcc_lo, v8, v5, vcc_lo
	v_subrev_co_ci_u32_e64 v10, s0, 0, v10, s0
	v_cmp_le_u32_e32 vcc_lo, s24, v15
	v_cmp_eq_u32_e64 s0, s25, v5
	v_cndmask_b32_e64 v15, 0, -1, vcc_lo
	v_cmp_le_u32_e32 vcc_lo, s25, v10
	v_cndmask_b32_e64 v16, 0, -1, vcc_lo
	v_cmp_le_u32_e32 vcc_lo, s24, v4
	;; [unrolled: 2-line block ×3, first 2 shown]
	v_cndmask_b32_e64 v17, 0, -1, vcc_lo
	v_cmp_eq_u32_e32 vcc_lo, s25, v10
	v_cndmask_b32_e64 v4, v17, v4, s0
	v_cndmask_b32_e32 v10, v16, v15, vcc_lo
	v_add_co_u32 v15, vcc_lo, v9, 1
	v_add_co_ci_u32_e32 v16, vcc_lo, 0, v6, vcc_lo
	v_cmp_ne_u32_e32 vcc_lo, 0, v10
	v_cndmask_b32_e32 v5, v16, v14, vcc_lo
	v_cndmask_b32_e32 v10, v15, v13, vcc_lo
	v_cmp_ne_u32_e32 vcc_lo, 0, v4
	v_cndmask_b32_e32 v6, v6, v5, vcc_lo
	v_cndmask_b32_e32 v5, v9, v10, vcc_lo
.LBB0_4:                                ;   in Loop: Header=BB0_2 Depth=1
	s_andn2_saveexec_b32 s0, s1
	s_cbranch_execz .LBB0_6
; %bb.5:                                ;   in Loop: Header=BB0_2 Depth=1
	v_cvt_f32_u32_e32 v4, s24
	s_sub_i32 s1, 0, s24
	v_rcp_iflag_f32_e32 v4, v4
	v_mul_f32_e32 v4, 0x4f7ffffe, v4
	v_cvt_u32_f32_e32 v4, v4
	v_mul_lo_u32 v5, s1, v4
	v_mul_hi_u32 v5, v4, v5
	v_add_nc_u32_e32 v4, v4, v5
	v_mul_hi_u32 v4, v7, v4
	v_mul_lo_u32 v5, v4, s24
	v_add_nc_u32_e32 v6, 1, v4
	v_sub_nc_u32_e32 v5, v7, v5
	v_subrev_nc_u32_e32 v9, s24, v5
	v_cmp_le_u32_e32 vcc_lo, s24, v5
	v_cndmask_b32_e32 v5, v5, v9, vcc_lo
	v_cndmask_b32_e32 v4, v4, v6, vcc_lo
	v_cmp_le_u32_e32 vcc_lo, s24, v5
	v_add_nc_u32_e32 v6, 1, v4
	v_cndmask_b32_e32 v5, v4, v6, vcc_lo
	v_mov_b32_e32 v6, v3
.LBB0_6:                                ;   in Loop: Header=BB0_2 Depth=1
	s_or_b32 exec_lo, exec_lo, s0
	v_mul_lo_u32 v4, v6, s24
	v_mul_lo_u32 v13, v5, s25
	s_load_dwordx2 s[0:1], s[6:7], 0x0
	v_mad_u64_u32 v[9:10], null, v5, s24, 0
	s_load_dwordx2 s[24:25], s[2:3], 0x0
	s_add_u32 s22, s22, 1
	s_addc_u32 s23, s23, 0
	s_add_u32 s2, s2, 8
	s_addc_u32 s3, s3, 0
	s_add_u32 s6, s6, 8
	v_add3_u32 v4, v10, v13, v4
	v_sub_co_u32 v7, vcc_lo, v7, v9
	s_addc_u32 s7, s7, 0
	s_add_u32 s20, s20, 8
	v_sub_co_ci_u32_e32 v4, vcc_lo, v8, v4, vcc_lo
	s_addc_u32 s21, s21, 0
	s_waitcnt lgkmcnt(0)
	v_mul_lo_u32 v8, s0, v4
	v_mul_lo_u32 v9, s1, v7
	v_mad_u64_u32 v[11:12], null, s0, v7, v[11:12]
	v_mul_lo_u32 v4, s24, v4
	v_mul_lo_u32 v10, s25, v7
	v_mad_u64_u32 v[1:2], null, s24, v7, v[1:2]
	v_cmp_ge_u64_e64 s0, s[22:23], s[14:15]
	v_add3_u32 v12, v9, v12, v8
	v_add3_u32 v2, v10, v2, v4
	s_and_b32 vcc_lo, exec_lo, s0
	s_cbranch_vccnz .LBB0_9
; %bb.7:                                ;   in Loop: Header=BB0_2 Depth=1
	v_mov_b32_e32 v8, v6
	v_mov_b32_e32 v7, v5
	s_branch .LBB0_2
.LBB0_8:
	v_mov_b32_e32 v1, v11
	v_mov_b32_e32 v5, v7
	;; [unrolled: 1-line block ×4, first 2 shown]
.LBB0_9:
	s_load_dwordx2 s[0:1], s[4:5], 0x28
	v_mul_hi_u32 v4, 0x1948b10, v0
	s_lshl_b64 s[4:5], s[14:15], 3
                                        ; implicit-def: $vgpr3
                                        ; implicit-def: $vgpr7
                                        ; implicit-def: $vgpr10
                                        ; implicit-def: $vgpr9
	s_add_u32 s2, s18, s4
	s_addc_u32 s3, s19, s5
	s_waitcnt lgkmcnt(0)
	v_cmp_gt_u64_e32 vcc_lo, s[0:1], v[5:6]
	v_cmp_le_u64_e64 s0, s[0:1], v[5:6]
	s_and_saveexec_b32 s1, s0
	s_xor_b32 s0, exec_lo, s1
; %bb.10:
	v_mul_u32_u24_e32 v3, 0xa2, v4
                                        ; implicit-def: $vgpr4
                                        ; implicit-def: $vgpr11_vgpr12
	v_sub_nc_u32_e32 v3, v0, v3
                                        ; implicit-def: $vgpr0
	v_add_nc_u32_e32 v7, 0xa2, v3
	v_add_nc_u32_e32 v10, 0x144, v3
	;; [unrolled: 1-line block ×3, first 2 shown]
; %bb.11:
	s_andn2_saveexec_b32 s1, s0
	s_cbranch_execz .LBB0_13
; %bb.12:
	s_add_u32 s4, s16, s4
	s_addc_u32 s5, s17, s5
	s_load_dwordx2 s[4:5], s[4:5], 0x0
	s_waitcnt lgkmcnt(0)
	v_mul_lo_u32 v3, s5, v5
	v_mul_lo_u32 v9, s4, v6
	v_mad_u64_u32 v[7:8], null, s4, v5, 0
	v_add3_u32 v8, v8, v9, v3
	v_mul_u32_u24_e32 v3, 0xa2, v4
	v_lshlrev_b64 v[9:10], 2, v[11:12]
	v_lshlrev_b64 v[7:8], 2, v[7:8]
	v_sub_nc_u32_e32 v3, v0, v3
	v_lshlrev_b32_e32 v13, 2, v3
	v_add_co_u32 v0, s0, s8, v7
	v_add_co_ci_u32_e64 v4, s0, s9, v8, s0
	v_add_co_u32 v0, s0, v0, v9
	v_add_co_ci_u32_e64 v4, s0, v4, v10, s0
	;; [unrolled: 2-line block ×5, first 2 shown]
	s_clause 0x9
	global_load_dword v0, v[7:8], off
	global_load_dword v4, v[7:8], off offset:648
	global_load_dword v14, v[7:8], off offset:1296
	global_load_dword v8, v[7:8], off offset:1944
	global_load_dword v15, v[9:10], off offset:544
	global_load_dword v16, v[9:10], off offset:1192
	global_load_dword v17, v[9:10], off offset:1840
	global_load_dword v18, v[11:12], off offset:440
	global_load_dword v19, v[11:12], off offset:1088
	global_load_dword v11, v[11:12], off offset:1736
	v_add_nc_u32_e32 v12, 0, v13
	v_add_nc_u32_e32 v7, 0xa2, v3
	;; [unrolled: 1-line block ×8, first 2 shown]
	s_waitcnt vmcnt(8)
	ds_write2_b32 v12, v0, v4 offset1:162
	s_waitcnt vmcnt(6)
	ds_write2_b32 v13, v14, v8 offset0:68 offset1:230
	s_waitcnt vmcnt(4)
	ds_write2_b32 v20, v15, v16 offset0:8 offset1:170
	s_waitcnt vmcnt(2)
	ds_write2_b32 v21, v17, v18 offset0:76 offset1:238
	s_waitcnt vmcnt(0)
	ds_write2_b32 v22, v19, v11 offset0:16 offset1:178
.LBB0_13:
	s_or_b32 exec_lo, exec_lo, s1
	v_lshl_add_u32 v0, v3, 2, 0
	s_load_dwordx2 s[4:5], s[2:3], 0x0
	s_waitcnt lgkmcnt(0)
	s_barrier
	buffer_gl0_inv
	v_add_nc_u32_e32 v4, 0x400, v0
	v_add_nc_u32_e32 v8, 0xa00, v0
	;; [unrolled: 1-line block ×4, first 2 shown]
	ds_read2_b32 v[11:12], v0 offset1:162
	ds_read2_b32 v[13:14], v4 offset0:68 offset1:230
	ds_read2_b32 v[15:16], v8 offset0:8 offset1:170
	;; [unrolled: 1-line block ×4, first 2 shown]
	v_mad_u32_u24 v4, v3, 36, v0
	s_waitcnt lgkmcnt(0)
	s_barrier
	buffer_gl0_inv
	v_cmp_gt_u32_e64 s0, 54, v3
	v_lshrrev_b32_e32 v8, 16, v11
	v_pk_add_f16 v29, v11, v13
	v_sub_f16_e32 v25, v13, v15
	v_add_f16_e32 v21, v15, v17
	v_sub_f16_sdwa v22, v13, v19 dst_sel:DWORD dst_unused:UNUSED_PAD src0_sel:WORD_1 src1_sel:WORD_1
	v_sub_f16_e32 v24, v19, v17
	v_sub_f16_e32 v27, v17, v19
	;; [unrolled: 1-line block ×3, first 2 shown]
	v_fma_f16 v21, -0.5, v21, v11
	v_sub_f16_sdwa v23, v15, v17 dst_sel:DWORD dst_unused:UNUSED_PAD src0_sel:WORD_1 src1_sel:WORD_1
	v_add_f16_e32 v26, v13, v19
	v_add_f16_sdwa v30, v15, v17 dst_sel:DWORD dst_unused:UNUSED_PAD src0_sel:WORD_1 src1_sel:WORD_1
	v_add_f16_e32 v24, v25, v24
	v_add_f16_e32 v25, v28, v27
	v_fmamk_f16 v28, v22, 0xbb9c, v21
	v_fmac_f16_e32 v21, 0x3b9c, v22
	v_sub_f16_e32 v31, v13, v19
	v_fma_f16 v11, -0.5, v26, v11
	v_pk_add_f16 v26, v29, v15
	v_fma_f16 v27, -0.5, v30, v8
	v_fmac_f16_e32 v28, 0xb8b4, v23
	v_fmac_f16_e32 v21, 0x38b4, v23
	v_sub_f16_e32 v32, v15, v17
	v_sub_f16_sdwa v33, v13, v15 dst_sel:DWORD dst_unused:UNUSED_PAD src0_sel:WORD_1 src1_sel:WORD_1
	v_sub_f16_sdwa v34, v19, v17 dst_sel:DWORD dst_unused:UNUSED_PAD src0_sel:WORD_1 src1_sel:WORD_1
	v_add_f16_sdwa v35, v13, v19 dst_sel:DWORD dst_unused:UNUSED_PAD src0_sel:WORD_1 src1_sel:WORD_1
	v_fmamk_f16 v29, v23, 0x3b9c, v11
	v_fmac_f16_e32 v11, 0xbb9c, v23
	v_pk_add_f16 v26, v26, v17
	v_fmamk_f16 v30, v31, 0x3b9c, v27
	v_fmac_f16_e32 v28, 0x34f2, v24
	v_fmac_f16_e32 v21, 0x34f2, v24
	v_fmac_f16_e32 v27, 0xbb9c, v31
	v_add_f16_e32 v24, v16, v18
	v_fmac_f16_e32 v29, 0xb8b4, v22
	v_fmac_f16_e32 v11, 0x38b4, v22
	;; [unrolled: 1-line block ×3, first 2 shown]
	v_add_f16_e32 v22, v33, v34
	v_fmac_f16_e32 v8, -0.5, v35
	v_pk_add_f16 v23, v26, v19
	v_fmac_f16_e32 v27, 0xb8b4, v32
	v_sub_f16_sdwa v13, v15, v13 dst_sel:DWORD dst_unused:UNUSED_PAD src0_sel:WORD_1 src1_sel:WORD_1
	v_sub_f16_sdwa v15, v17, v19 dst_sel:DWORD dst_unused:UNUSED_PAD src0_sel:WORD_1 src1_sel:WORD_1
	v_fma_f16 v17, -0.5, v24, v12
	v_sub_f16_sdwa v19, v14, v20 dst_sel:DWORD dst_unused:UNUSED_PAD src0_sel:WORD_1 src1_sel:WORD_1
	v_fmac_f16_e32 v29, 0x34f2, v25
	v_fmac_f16_e32 v11, 0x34f2, v25
	;; [unrolled: 1-line block ×3, first 2 shown]
	v_fmamk_f16 v25, v32, 0xbb9c, v8
	v_fmac_f16_e32 v27, 0x34f2, v22
	v_add_f16_e32 v13, v13, v15
	v_fmac_f16_e32 v8, 0x3b9c, v32
	v_fmamk_f16 v15, v19, 0xbb9c, v17
	v_sub_f16_sdwa v22, v16, v18 dst_sel:DWORD dst_unused:UNUSED_PAD src0_sel:WORD_1 src1_sel:WORD_1
	v_sub_f16_e32 v24, v20, v18
	v_sub_f16_e32 v26, v14, v16
	v_fmac_f16_e32 v17, 0x3b9c, v19
	v_add_f16_e32 v32, v14, v20
	v_fmac_f16_e32 v25, 0x38b4, v31
	v_fmac_f16_e32 v8, 0xb8b4, v31
	;; [unrolled: 1-line block ×3, first 2 shown]
	v_add_f16_e32 v24, v26, v24
	v_fmac_f16_e32 v17, 0x38b4, v22
	v_fma_f16 v26, -0.5, v32, v12
	v_fmac_f16_e32 v25, 0x34f2, v13
	v_fmac_f16_e32 v8, 0x34f2, v13
	;; [unrolled: 1-line block ×4, first 2 shown]
	v_fmamk_f16 v13, v22, 0x3b9c, v26
	v_sub_f16_e32 v24, v18, v20
	v_sub_f16_e32 v31, v16, v14
	v_fmac_f16_e32 v26, 0xbb9c, v22
	v_add_f16_sdwa v22, v16, v18 dst_sel:DWORD dst_unused:UNUSED_PAD src0_sel:WORD_1 src1_sel:WORD_1
	v_lshrrev_b32_e32 v32, 16, v12
	v_fmac_f16_e32 v13, 0xb8b4, v19
	v_add_f16_e32 v24, v31, v24
	v_fmac_f16_e32 v26, 0x38b4, v19
	v_add_f16_sdwa v19, v14, v20 dst_sel:DWORD dst_unused:UNUSED_PAD src0_sel:WORD_1 src1_sel:WORD_1
	v_fma_f16 v22, -0.5, v22, v32
	v_sub_f16_e32 v31, v14, v20
	v_fmac_f16_e32 v13, 0x34f2, v24
	v_sub_f16_e32 v33, v16, v18
	v_fmac_f16_e32 v32, -0.5, v19
	v_fmac_f16_e32 v26, 0x34f2, v24
	v_fmamk_f16 v19, v31, 0x3b9c, v22
	v_sub_f16_sdwa v24, v14, v16 dst_sel:DWORD dst_unused:UNUSED_PAD src0_sel:WORD_1 src1_sel:WORD_1
	v_sub_f16_sdwa v34, v20, v18 dst_sel:DWORD dst_unused:UNUSED_PAD src0_sel:WORD_1 src1_sel:WORD_1
	v_fmamk_f16 v35, v33, 0xbb9c, v32
	v_sub_f16_sdwa v36, v16, v14 dst_sel:DWORD dst_unused:UNUSED_PAD src0_sel:WORD_1 src1_sel:WORD_1
	v_fmac_f16_e32 v19, 0x38b4, v33
	v_sub_f16_sdwa v37, v18, v20 dst_sel:DWORD dst_unused:UNUSED_PAD src0_sel:WORD_1 src1_sel:WORD_1
	v_add_f16_e32 v24, v24, v34
	v_fmac_f16_e32 v32, 0x3b9c, v33
	v_fmac_f16_e32 v22, 0xbb9c, v31
	;; [unrolled: 1-line block ×3, first 2 shown]
	v_add_f16_e32 v34, v36, v37
	v_fmac_f16_e32 v19, 0x34f2, v24
	v_fmac_f16_e32 v32, 0xb8b4, v31
	v_pk_add_f16 v12, v12, v14
	v_fmac_f16_e32 v22, 0xb8b4, v33
	v_fmac_f16_e32 v35, 0x34f2, v34
	v_mul_f16_e32 v14, 0xb8b4, v19
	v_fmac_f16_e32 v32, 0x34f2, v34
	v_pk_add_f16 v12, v12, v16
	v_fmac_f16_e32 v22, 0x34f2, v24
	v_mul_f16_e32 v16, 0xbb9c, v35
	v_fmac_f16_e32 v14, 0x3a79, v15
	v_mul_f16_e32 v15, 0x38b4, v15
	v_mul_f16_e32 v31, 0xbb9c, v32
	;; [unrolled: 1-line block ×4, first 2 shown]
	v_pk_add_f16 v12, v12, v18
	v_mul_f16_e32 v18, 0xb8b4, v22
	v_mul_f16_e32 v22, 0xba79, v22
	v_fmac_f16_e32 v15, 0x3a79, v19
	v_fmac_f16_e32 v16, 0x34f2, v13
	;; [unrolled: 1-line block ×7, first 2 shown]
	v_pk_add_f16 v12, v12, v20
	v_add_f16_e32 v20, v28, v14
	v_add_f16_e32 v17, v30, v15
	;; [unrolled: 1-line block ×8, first 2 shown]
	v_sub_f16_e32 v14, v28, v14
	v_sub_f16_e32 v16, v29, v16
	;; [unrolled: 1-line block ×8, first 2 shown]
	v_pk_add_f16 v13, v23, v12
	v_pack_b32_f16 v17, v20, v17
	v_pack_b32_f16 v20, v33, v26
	;; [unrolled: 1-line block ×3, first 2 shown]
	v_pk_add_f16 v12, v23, v12 neg_lo:[0,1] neg_hi:[0,1]
	v_pack_b32_f16 v23, v35, v36
	v_pack_b32_f16 v16, v16, v21
	;; [unrolled: 1-line block ×5, first 2 shown]
	ds_write2_b32 v4, v13, v17 offset1:1
	ds_write2_b32 v4, v19, v20 offset0:2 offset1:3
	ds_write2_b32 v4, v23, v12 offset0:4 offset1:5
	;; [unrolled: 1-line block ×4, first 2 shown]
	v_add_nc_u32_e32 v4, 0x800, v0
	v_add_nc_u32_e32 v8, 0xd00, v0
	;; [unrolled: 1-line block ×3, first 2 shown]
	v_lshl_add_u32 v21, v7, 2, 0
	v_lshl_add_u32 v20, v10, 2, 0
	s_waitcnt lgkmcnt(0)
	s_barrier
	buffer_gl0_inv
	ds_read2_b32 v[11:12], v4 offset0:28 offset1:190
	ds_read2_b32 v[15:16], v8 offset0:32 offset1:248
	;; [unrolled: 1-line block ×3, first 2 shown]
	ds_read_b32 v25, v0
	ds_read_b32 v24, v21
	;; [unrolled: 1-line block ×3, first 2 shown]
	v_lshl_add_u32 v19, v9, 2, 0
                                        ; implicit-def: $vgpr8
                                        ; implicit-def: $vgpr4
                                        ; implicit-def: $vgpr27
                                        ; implicit-def: $vgpr26
	s_and_saveexec_b32 s1, s0
	s_cbranch_execz .LBB0_15
; %bb.14:
	ds_read_b32 v18, v19
	ds_read_b32 v4, v0 offset:6264
	ds_read_b32 v26, v0 offset:4104
	s_waitcnt lgkmcnt(2)
	v_lshrrev_b32_e32 v22, 16, v18
	s_waitcnt lgkmcnt(1)
	v_lshrrev_b32_e32 v8, 16, v4
	;; [unrolled: 2-line block ×3, first 2 shown]
.LBB0_15:
	s_or_b32 exec_lo, exec_lo, s1
	v_and_b32_e32 v23, 0xff, v3
	v_mov_b32_e32 v28, 0xcccd
	v_mov_b32_e32 v31, 3
	;; [unrolled: 1-line block ×3, first 2 shown]
	s_waitcnt lgkmcnt(5)
	v_lshrrev_b32_e32 v48, 16, v11
	v_mul_lo_u16 v29, 0xcd, v23
	v_mul_u32_u24_sdwa v30, v7, v28 dst_sel:DWORD dst_unused:UNUSED_PAD src0_sel:WORD_0 src1_sel:DWORD
	s_waitcnt lgkmcnt(4)
	v_lshrrev_b32_e32 v49, 16, v16
	v_lshrrev_b32_e32 v50, 16, v12
	s_waitcnt lgkmcnt(3)
	v_lshrrev_b32_e32 v52, 16, v13
	v_lshrrev_b16 v40, 11, v29
	v_mul_u32_u24_sdwa v29, v10, v28 dst_sel:DWORD dst_unused:UNUSED_PAD src0_sel:WORD_0 src1_sel:DWORD
	v_lshrrev_b32_e32 v41, 19, v30
	v_mul_u32_u24_sdwa v28, v9, v28 dst_sel:DWORD dst_unused:UNUSED_PAD src0_sel:WORD_0 src1_sel:DWORD
	v_lshrrev_b32_e32 v53, 16, v15
	v_mul_lo_u16 v30, v40, 10
	v_lshrrev_b32_e32 v42, 19, v29
	v_mul_lo_u16 v32, v41, 10
	v_lshrrev_b32_e32 v29, 19, v28
	v_mul_u32_u24_sdwa v40, v40, v51 dst_sel:DWORD dst_unused:UNUSED_PAD src0_sel:WORD_0 src1_sel:DWORD
	v_sub_nc_u16 v43, v3, v30
	v_mul_lo_u16 v28, v42, 10
	v_sub_nc_u16 v44, v7, v32
	v_mul_lo_u16 v34, v29, 10
	v_mul_u32_u24_e32 v41, 0x78, v41
	v_lshlrev_b32_sdwa v30, v31, v43 dst_sel:DWORD dst_unused:UNUSED_PAD src0_sel:DWORD src1_sel:BYTE_0
	v_sub_nc_u16 v28, v10, v28
	v_lshlrev_b32_sdwa v35, v31, v44 dst_sel:DWORD dst_unused:UNUSED_PAD src0_sel:DWORD src1_sel:WORD_0
	v_mul_u32_u24_e32 v42, 0x78, v42
	v_lshrrev_b32_e32 v54, 16, v14
	global_load_dwordx2 v[32:33], v30, s[12:13]
	v_sub_nc_u16 v30, v9, v34
	v_lshlrev_b32_sdwa v36, v31, v28 dst_sel:DWORD dst_unused:UNUSED_PAD src0_sel:DWORD src1_sel:WORD_0
	global_load_dwordx2 v[34:35], v35, s[12:13]
	s_waitcnt lgkmcnt(1)
	v_lshrrev_b32_e32 v46, 16, v24
	v_lshrrev_b32_e32 v45, 16, v25
	v_lshlrev_b32_sdwa v31, v31, v30 dst_sel:DWORD dst_unused:UNUSED_PAD src0_sel:DWORD src1_sel:WORD_0
	s_waitcnt lgkmcnt(0)
	v_lshrrev_b32_e32 v47, 16, v17
	s_clause 0x1
	global_load_dwordx2 v[36:37], v36, s[12:13]
	global_load_dwordx2 v[38:39], v31, s[12:13]
	v_mov_b32_e32 v31, 2
	s_waitcnt vmcnt(0)
	s_barrier
	buffer_gl0_inv
	v_lshlrev_b32_sdwa v43, v31, v43 dst_sel:DWORD dst_unused:UNUSED_PAD src0_sel:DWORD src1_sel:BYTE_0
	v_lshlrev_b32_sdwa v44, v31, v44 dst_sel:DWORD dst_unused:UNUSED_PAD src0_sel:DWORD src1_sel:WORD_0
	v_lshlrev_b32_sdwa v28, v31, v28 dst_sel:DWORD dst_unused:UNUSED_PAD src0_sel:DWORD src1_sel:WORD_0
	v_add3_u32 v40, 0, v40, v43
	v_add3_u32 v41, 0, v41, v44
	;; [unrolled: 1-line block ×3, first 2 shown]
	v_mul_f16_sdwa v28, v32, v48 dst_sel:DWORD dst_unused:UNUSED_PAD src0_sel:WORD_1 src1_sel:DWORD
	v_mul_f16_sdwa v43, v32, v11 dst_sel:DWORD dst_unused:UNUSED_PAD src0_sel:WORD_1 src1_sel:DWORD
	;; [unrolled: 1-line block ×8, first 2 shown]
	v_fma_f16 v43, v32, v48, -v43
	v_mul_f16_sdwa v59, v36, v53 dst_sel:DWORD dst_unused:UNUSED_PAD src0_sel:WORD_1 src1_sel:DWORD
	v_mul_f16_sdwa v60, v36, v15 dst_sel:DWORD dst_unused:UNUSED_PAD src0_sel:WORD_1 src1_sel:DWORD
	;; [unrolled: 1-line block ×4, first 2 shown]
	v_mul_f16_sdwa v63, v27, v38 dst_sel:DWORD dst_unused:UNUSED_PAD src0_sel:DWORD src1_sel:WORD_1
	v_mul_f16_sdwa v48, v26, v38 dst_sel:DWORD dst_unused:UNUSED_PAD src0_sel:DWORD src1_sel:WORD_1
	v_fma_f16 v49, v33, v49, -v51
	v_mul_f16_sdwa v51, v8, v39 dst_sel:DWORD dst_unused:UNUSED_PAD src0_sel:DWORD src1_sel:WORD_1
	v_fmac_f16_e32 v28, v32, v11
	v_fmac_f16_e32 v44, v33, v16
	v_mul_f16_sdwa v11, v4, v39 dst_sel:DWORD dst_unused:UNUSED_PAD src0_sel:DWORD src1_sel:WORD_1
	v_fmac_f16_e32 v55, v34, v12
	v_fma_f16 v12, v34, v50, -v56
	v_fma_f16 v16, v35, v52, -v58
	v_fmac_f16_e32 v57, v35, v13
	v_fmac_f16_e32 v59, v36, v15
	v_fma_f16 v13, v36, v53, -v60
	v_fmac_f16_e32 v61, v37, v14
	v_fma_f16 v14, v37, v54, -v62
	;; [unrolled: 2-line block ×4, first 2 shown]
	v_add_f16_e32 v11, v28, v44
	v_add_f16_e32 v32, v43, v49
	;; [unrolled: 1-line block ×3, first 2 shown]
	v_sub_f16_e32 v35, v12, v16
	v_add_f16_e32 v36, v46, v12
	v_add_f16_e32 v12, v12, v16
	v_sub_f16_e32 v26, v43, v49
	v_add_f16_e32 v27, v45, v43
	v_add_f16_e32 v39, v59, v61
	;; [unrolled: 3-line block ×3, first 2 shown]
	v_add_f16_e32 v4, v25, v28
	v_sub_f16_e32 v28, v28, v44
	v_add_f16_e32 v33, v24, v55
	v_sub_f16_e32 v37, v55, v57
	;; [unrolled: 2-line block ×3, first 2 shown]
	v_add_f16_e32 v55, v22, v15
	v_add_f16_e32 v15, v15, v8
	v_fmac_f16_e32 v25, -0.5, v11
	v_fmac_f16_e32 v45, -0.5, v32
	v_add_f16_e32 v38, v17, v59
	v_fmac_f16_e32 v24, -0.5, v34
	v_fmac_f16_e32 v46, -0.5, v12
	v_sub_f16_e32 v50, v59, v61
	v_fmac_f16_e32 v17, -0.5, v39
	v_fmac_f16_e32 v47, -0.5, v13
	v_add_f16_e32 v52, v18, v63
	v_sub_f16_e32 v56, v63, v51
	v_add_f16_e32 v44, v4, v44
	v_add_f16_e32 v11, v27, v49
	v_fmac_f16_e32 v18, -0.5, v53
	v_fmac_f16_e32 v22, -0.5, v15
	v_fmamk_f16 v13, v26, 0xbaee, v25
	v_fmamk_f16 v15, v28, 0x3aee, v45
	v_add_f16_e32 v12, v38, v61
	v_add_f16_e32 v14, v48, v14
	v_fmac_f16_e32 v25, 0x3aee, v26
	v_fmac_f16_e32 v45, 0xbaee, v28
	v_add_f16_e32 v32, v33, v57
	v_add_f16_e32 v16, v36, v16
	v_fmamk_f16 v26, v35, 0xbaee, v24
	v_fmamk_f16 v33, v37, 0x3aee, v46
	v_fmac_f16_e32 v24, 0x3aee, v35
	v_fmac_f16_e32 v46, 0xbaee, v37
	v_fmamk_f16 v34, v43, 0xbaee, v17
	v_fmamk_f16 v35, v50, 0x3aee, v47
	v_add_f16_e32 v4, v52, v51
	v_add_f16_e32 v8, v55, v8
	v_fmac_f16_e32 v17, 0x3aee, v43
	v_fmac_f16_e32 v47, 0xbaee, v50
	v_fmamk_f16 v27, v54, 0xbaee, v18
	v_fmac_f16_e32 v18, 0x3aee, v54
	v_fmamk_f16 v28, v56, 0x3aee, v22
	v_fmac_f16_e32 v22, 0xbaee, v56
	v_pack_b32_f16 v11, v44, v11
	v_pack_b32_f16 v13, v13, v15
	;; [unrolled: 1-line block ×9, first 2 shown]
	ds_write2_b32 v40, v11, v13 offset1:10
	ds_write_b32 v40, v14 offset:80
	ds_write2_b32 v41, v16, v15 offset1:10
	ds_write_b32 v41, v24 offset:80
	;; [unrolled: 2-line block ×3, first 2 shown]
	s_and_saveexec_b32 s1, s0
	s_cbranch_execz .LBB0_17
; %bb.16:
	v_mul_lo_u16 v11, v29, 30
	v_lshlrev_b32_sdwa v12, v31, v30 dst_sel:DWORD dst_unused:UNUSED_PAD src0_sel:DWORD src1_sel:WORD_0
	v_perm_b32 v13, v8, v4, 0x5040100
	v_perm_b32 v14, v28, v27, 0x5040100
	v_lshlrev_b32_sdwa v11, v31, v11 dst_sel:DWORD dst_unused:UNUSED_PAD src0_sel:DWORD src1_sel:WORD_0
	v_add3_u32 v11, 0, v12, v11
	v_perm_b32 v12, v22, v18, 0x5040100
	ds_write2_b32 v11, v13, v14 offset1:10
	ds_write_b32 v11, v12 offset:80
.LBB0_17:
	s_or_b32 exec_lo, exec_lo, s1
	v_add_nc_u32_e32 v11, 0x800, v0
	v_add_nc_u32_e32 v12, 0xd00, v0
	;; [unrolled: 1-line block ×3, first 2 shown]
	s_waitcnt lgkmcnt(0)
	s_barrier
	buffer_gl0_inv
	ds_read2_b32 v[15:16], v11 offset0:28 offset1:190
	ds_read2_b32 v[13:14], v12 offset0:32 offset1:248
	ds_read2_b32 v[11:12], v17 offset0:90 offset1:252
	ds_read_b32 v26, v0
	ds_read_b32 v25, v21
	;; [unrolled: 1-line block ×3, first 2 shown]
	s_and_saveexec_b32 s1, s0
	s_cbranch_execz .LBB0_19
; %bb.18:
	ds_read_b32 v4, v19
	ds_read_b32 v18, v0 offset:6264
	ds_read_b32 v27, v0 offset:4104
	s_waitcnt lgkmcnt(2)
	v_lshrrev_b32_e32 v8, 16, v4
	s_waitcnt lgkmcnt(1)
	v_lshrrev_b32_e32 v22, 16, v18
	s_waitcnt lgkmcnt(0)
	v_lshrrev_b32_e32 v28, 16, v27
.LBB0_19:
	s_or_b32 exec_lo, exec_lo, s1
	v_mul_lo_u16 v23, 0x89, v23
	v_mov_b32_e32 v24, 0x8889
	v_mov_b32_e32 v31, 3
	;; [unrolled: 1-line block ×3, first 2 shown]
	s_waitcnt lgkmcnt(5)
	v_lshrrev_b32_e32 v47, 16, v15
	v_lshrrev_b16 v40, 12, v23
	v_mul_u32_u24_sdwa v23, v7, v24 dst_sel:DWORD dst_unused:UNUSED_PAD src0_sel:WORD_0 src1_sel:DWORD
	v_mul_u32_u24_sdwa v30, v10, v24 dst_sel:DWORD dst_unused:UNUSED_PAD src0_sel:WORD_0 src1_sel:DWORD
	s_waitcnt lgkmcnt(4)
	v_lshrrev_b32_e32 v49, 16, v14
	v_lshrrev_b32_e32 v50, 16, v16
	v_mul_lo_u16 v29, v40, 30
	v_lshrrev_b32_e32 v41, 20, v23
	v_mul_u32_u24_sdwa v23, v9, v24 dst_sel:DWORD dst_unused:UNUSED_PAD src0_sel:WORD_0 src1_sel:DWORD
	v_lshrrev_b32_e32 v24, 20, v30
	v_mul_u32_u24_sdwa v40, v40, v48 dst_sel:DWORD dst_unused:UNUSED_PAD src0_sel:WORD_0 src1_sel:DWORD
	v_sub_nc_u16 v42, v3, v29
	v_mul_lo_u16 v30, v41, 30
	v_lshrrev_b32_e32 v29, 20, v23
	v_mul_lo_u16 v23, v24, 30
	v_mul_u32_u24_e32 v41, 0x168, v41
	v_lshlrev_b32_sdwa v32, v31, v42 dst_sel:DWORD dst_unused:UNUSED_PAD src0_sel:DWORD src1_sel:BYTE_0
	v_sub_nc_u16 v43, v7, v30
	v_mul_lo_u16 v30, v29, 30
	v_sub_nc_u16 v44, v10, v23
	s_waitcnt lgkmcnt(3)
	v_lshrrev_b32_e32 v51, 16, v11
	global_load_dwordx2 v[32:33], v32, s[12:13] offset:80
	v_lshlrev_b32_sdwa v23, v31, v43 dst_sel:DWORD dst_unused:UNUSED_PAD src0_sel:DWORD src1_sel:WORD_0
	v_sub_nc_u16 v30, v9, v30
	v_lshlrev_b32_sdwa v36, v31, v44 dst_sel:DWORD dst_unused:UNUSED_PAD src0_sel:DWORD src1_sel:WORD_0
	v_mul_u32_u24_e32 v24, 0x168, v24
	v_lshrrev_b32_e32 v48, 16, v13
	global_load_dwordx2 v[34:35], v23, s[12:13] offset:80
	v_lshlrev_b32_sdwa v23, v31, v30 dst_sel:DWORD dst_unused:UNUSED_PAD src0_sel:DWORD src1_sel:WORD_0
	v_mov_b32_e32 v31, 2
	s_clause 0x1
	global_load_dwordx2 v[36:37], v36, s[12:13] offset:80
	global_load_dwordx2 v[38:39], v23, s[12:13] offset:80
	v_lshrrev_b32_e32 v52, 16, v12
	v_lshlrev_b32_sdwa v42, v31, v42 dst_sel:DWORD dst_unused:UNUSED_PAD src0_sel:DWORD src1_sel:BYTE_0
	s_waitcnt lgkmcnt(2)
	v_lshrrev_b32_e32 v45, 16, v26
	s_waitcnt lgkmcnt(1)
	v_lshrrev_b32_e32 v46, 16, v25
	;; [unrolled: 2-line block ×3, first 2 shown]
	s_waitcnt vmcnt(0)
	v_add3_u32 v40, 0, v40, v42
	v_lshlrev_b32_sdwa v42, v31, v43 dst_sel:DWORD dst_unused:UNUSED_PAD src0_sel:DWORD src1_sel:WORD_0
	v_lshlrev_b32_sdwa v43, v31, v44 dst_sel:DWORD dst_unused:UNUSED_PAD src0_sel:DWORD src1_sel:WORD_0
	s_barrier
	buffer_gl0_inv
	v_add3_u32 v41, 0, v41, v42
	v_add3_u32 v43, 0, v24, v43
	v_mul_f16_sdwa v42, v32, v47 dst_sel:DWORD dst_unused:UNUSED_PAD src0_sel:WORD_1 src1_sel:DWORD
	v_mul_f16_sdwa v44, v32, v15 dst_sel:DWORD dst_unused:UNUSED_PAD src0_sel:WORD_1 src1_sel:DWORD
	;; [unrolled: 1-line block ×4, first 2 shown]
	v_fmac_f16_e32 v42, v32, v15
	v_fma_f16 v15, v32, v47, -v44
	v_fmac_f16_e32 v53, v33, v14
	v_fma_f16 v14, v33, v49, -v54
	v_mul_f16_sdwa v24, v34, v50 dst_sel:DWORD dst_unused:UNUSED_PAD src0_sel:WORD_1 src1_sel:DWORD
	v_mul_f16_sdwa v32, v34, v16 dst_sel:DWORD dst_unused:UNUSED_PAD src0_sel:WORD_1 src1_sel:DWORD
	v_mul_f16_sdwa v33, v35, v51 dst_sel:DWORD dst_unused:UNUSED_PAD src0_sel:WORD_1 src1_sel:DWORD
	v_mul_f16_sdwa v44, v35, v11 dst_sel:DWORD dst_unused:UNUSED_PAD src0_sel:WORD_1 src1_sel:DWORD
	v_mul_f16_sdwa v56, v28, v38 dst_sel:DWORD dst_unused:UNUSED_PAD src0_sel:DWORD src1_sel:WORD_1
	v_mul_f16_sdwa v57, v27, v38 dst_sel:DWORD dst_unused:UNUSED_PAD src0_sel:DWORD src1_sel:WORD_1
	v_mul_f16_sdwa v47, v36, v48 dst_sel:DWORD dst_unused:UNUSED_PAD src0_sel:WORD_1 src1_sel:DWORD
	v_mul_f16_sdwa v49, v36, v13 dst_sel:DWORD dst_unused:UNUSED_PAD src0_sel:WORD_1 src1_sel:DWORD
	v_mul_f16_sdwa v54, v37, v52 dst_sel:DWORD dst_unused:UNUSED_PAD src0_sel:WORD_1 src1_sel:DWORD
	v_mul_f16_sdwa v55, v37, v12 dst_sel:DWORD dst_unused:UNUSED_PAD src0_sel:WORD_1 src1_sel:DWORD
	v_mul_f16_sdwa v58, v22, v39 dst_sel:DWORD dst_unused:UNUSED_PAD src0_sel:DWORD src1_sel:WORD_1
	v_mul_f16_sdwa v59, v18, v39 dst_sel:DWORD dst_unused:UNUSED_PAD src0_sel:DWORD src1_sel:WORD_1
	v_fmac_f16_e32 v24, v34, v16
	v_fma_f16 v16, v34, v50, -v32
	v_fmac_f16_e32 v33, v35, v11
	v_fma_f16 v11, v35, v51, -v44
	v_fmac_f16_e32 v56, v27, v38
	v_fma_f16 v27, v28, v38, -v57
	v_add_f16_e32 v28, v42, v53
	v_sub_f16_e32 v32, v15, v14
	v_add_f16_e32 v34, v45, v15
	v_add_f16_e32 v15, v15, v14
	v_fmac_f16_e32 v47, v36, v13
	v_fma_f16 v13, v36, v48, -v49
	v_fmac_f16_e32 v54, v37, v12
	v_fma_f16 v12, v37, v52, -v55
	;; [unrolled: 2-line block ×3, first 2 shown]
	v_add_f16_e32 v22, v26, v42
	v_sub_f16_e32 v35, v42, v53
	v_fmac_f16_e32 v26, -0.5, v28
	v_add_f16_e32 v28, v34, v14
	v_fmac_f16_e32 v45, -0.5, v15
	v_add_f16_e32 v15, v24, v33
	v_sub_f16_e32 v34, v16, v11
	v_add_f16_e32 v36, v46, v16
	v_add_f16_e32 v16, v16, v11
	v_add_f16_e32 v38, v47, v54
	v_sub_f16_e32 v39, v13, v12
	v_add_f16_e32 v42, v23, v13
	v_add_f16_e32 v13, v13, v12
	;; [unrolled: 4-line block ×3, first 2 shown]
	v_add_f16_e32 v22, v22, v53
	v_add_f16_e32 v14, v25, v24
	v_sub_f16_e32 v24, v24, v33
	v_fmamk_f16 v52, v32, 0xbaee, v26
	v_fmac_f16_e32 v26, 0x3aee, v32
	v_fmamk_f16 v32, v35, 0x3aee, v45
	v_fmac_f16_e32 v25, -0.5, v15
	v_fmac_f16_e32 v46, -0.5, v16
	v_add_f16_e32 v37, v17, v47
	v_sub_f16_e32 v44, v47, v54
	v_fmac_f16_e32 v17, -0.5, v38
	v_fmac_f16_e32 v23, -0.5, v13
	v_add_f16_e32 v47, v4, v56
	v_sub_f16_e32 v51, v56, v58
	v_fmac_f16_e32 v45, 0xbaee, v35
	v_fmac_f16_e32 v4, -0.5, v48
	v_fmac_f16_e32 v8, -0.5, v27
	v_add_f16_e32 v33, v14, v33
	v_add_f16_e32 v35, v36, v11
	v_pack_b32_f16 v13, v22, v28
	v_fmamk_f16 v27, v34, 0xbaee, v25
	v_fmamk_f16 v28, v24, 0x3aee, v46
	v_pack_b32_f16 v32, v52, v32
	v_fmac_f16_e32 v25, 0x3aee, v34
	v_fmac_f16_e32 v46, 0xbaee, v24
	v_add_f16_e32 v11, v37, v54
	v_add_f16_e32 v12, v42, v12
	v_add_f16_e32 v15, v50, v18
	v_fmamk_f16 v18, v39, 0xbaee, v17
	v_fmamk_f16 v24, v44, 0x3aee, v23
	v_fmac_f16_e32 v17, 0x3aee, v39
	v_fmac_f16_e32 v23, 0xbaee, v44
	v_add_f16_e32 v14, v47, v58
	v_fmamk_f16 v16, v49, 0xbaee, v4
	v_fmac_f16_e32 v4, 0x3aee, v49
	v_fmamk_f16 v22, v51, 0x3aee, v8
	v_fmac_f16_e32 v8, 0xbaee, v51
	v_pack_b32_f16 v26, v26, v45
	v_pack_b32_f16 v33, v33, v35
	ds_write2_b32 v40, v13, v32 offset1:30
	v_pack_b32_f16 v13, v27, v28
	v_pack_b32_f16 v25, v25, v46
	;; [unrolled: 1-line block ×5, first 2 shown]
	ds_write_b32 v40, v26 offset:240
	ds_write2_b32 v41, v33, v13 offset1:30
	ds_write_b32 v41, v25 offset:240
	ds_write2_b32 v43, v34, v27 offset1:30
	ds_write_b32 v43, v28 offset:240
	s_and_saveexec_b32 s1, s0
	s_cbranch_execz .LBB0_21
; %bb.20:
	v_mul_lo_u16 v13, 0x5a, v29
	v_lshlrev_b32_sdwa v25, v31, v30 dst_sel:DWORD dst_unused:UNUSED_PAD src0_sel:DWORD src1_sel:WORD_0
	v_perm_b32 v26, v15, v14, 0x5040100
	v_perm_b32 v27, v22, v16, 0x5040100
	v_lshlrev_b32_sdwa v13, v31, v13 dst_sel:DWORD dst_unused:UNUSED_PAD src0_sel:DWORD src1_sel:WORD_0
	v_add3_u32 v13, 0, v25, v13
	v_perm_b32 v25, v8, v4, 0x5040100
	ds_write2_b32 v13, v26, v27 offset1:30
	ds_write_b32 v13, v25 offset:240
.LBB0_21:
	s_or_b32 exec_lo, exec_lo, s1
	s_waitcnt lgkmcnt(0)
	s_barrier
	buffer_gl0_inv
	ds_read_b32 v13, v0
	ds_read_b32 v31, v0 offset:1080
	ds_read_b32 v30, v0 offset:2160
	ds_read_b32 v29, v0 offset:3240
	ds_read_b32 v28, v0 offset:4320
	ds_read_b32 v27, v0 offset:5400
	v_cmp_gt_u32_e64 s1, 0x6c, v3
	s_and_saveexec_b32 s2, s1
	s_cbranch_execz .LBB0_23
; %bb.22:
	ds_read_b32 v11, v21
	ds_read_b32 v14, v0 offset:3888
	ds_read_b32 v16, v0 offset:4968
	;; [unrolled: 1-line block ×5, first 2 shown]
	s_waitcnt lgkmcnt(5)
	v_lshrrev_b32_e32 v12, 16, v11
	s_waitcnt lgkmcnt(4)
	v_lshrrev_b32_e32 v15, 16, v14
	;; [unrolled: 2-line block ×6, first 2 shown]
.LBB0_23:
	s_or_b32 exec_lo, exec_lo, s2
	v_add_nc_u32_e32 v25, 0xffffffa6, v3
	v_cmp_gt_u32_e64 s2, 0x5a, v3
	v_mov_b32_e32 v32, 0x2d83
	v_mov_b32_e32 v26, 0
	;; [unrolled: 1-line block ×3, first 2 shown]
	s_waitcnt lgkmcnt(4)
	v_lshrrev_b32_e32 v45, 16, v31
	v_cndmask_b32_e64 v40, v25, v3, s2
	v_mul_u32_u24_sdwa v34, v7, v32 dst_sel:DWORD dst_unused:UNUSED_PAD src0_sel:WORD_0 src1_sel:DWORD
	s_waitcnt lgkmcnt(2)
	v_lshrrev_b32_e32 v46, 16, v29
	s_waitcnt lgkmcnt(1)
	v_lshrrev_b32_e32 v47, 16, v28
	;; [unrolled: 2-line block ×3, first 2 shown]
	v_mul_i32_i24_e32 v25, 5, v40
	v_lshlrev_b32_e32 v40, 2, v40
	v_lshrrev_b32_e32 v44, 16, v13
	v_lshlrev_b64 v[32:33], 2, v[25:26]
	v_lshrrev_b32_e32 v25, 20, v34
	v_mul_lo_u16 v26, 0x5a, v25
	v_add_co_u32 v36, s2, s12, v32
	v_add_co_ci_u32_e64 v37, s2, s13, v33, s2
	v_sub_nc_u16 v26, v7, v26
	v_cmp_lt_u32_e64 s2, 0x59, v3
	s_clause 0x1
	global_load_dwordx4 v[32:35], v[36:37], off offset:320
	global_load_dword v41, v[36:37], off offset:336
	v_mul_u32_u24_sdwa v36, v26, v38 dst_sel:DWORD dst_unused:UNUSED_PAD src0_sel:WORD_0 src1_sel:DWORD
	v_cndmask_b32_e64 v43, 0, 0x870, s2
	v_lshlrev_b32_e32 v42, 2, v36
	v_add3_u32 v40, 0, v43, v40
	v_lshrrev_b32_e32 v43, 16, v30
	s_clause 0x1
	global_load_dwordx4 v[36:39], v42, s[12:13] offset:320
	global_load_dword v42, v42, s[12:13] offset:336
	v_add_nc_u32_e32 v49, 0x200, v40
	v_add_nc_u32_e32 v50, 0x400, v40
	s_waitcnt vmcnt(0)
	s_barrier
	buffer_gl0_inv
	v_mul_f16_sdwa v51, v32, v45 dst_sel:DWORD dst_unused:UNUSED_PAD src0_sel:WORD_1 src1_sel:DWORD
	v_mul_f16_sdwa v52, v32, v31 dst_sel:DWORD dst_unused:UNUSED_PAD src0_sel:WORD_1 src1_sel:DWORD
	;; [unrolled: 1-line block ×10, first 2 shown]
	v_fmac_f16_e32 v51, v32, v31
	v_fma_f16 v31, v32, v45, -v52
	v_fmac_f16_e32 v53, v33, v30
	v_fma_f16 v30, v33, v43, -v54
	;; [unrolled: 2-line block ×5, first 2 shown]
	v_mul_f16_sdwa v41, v15, v38 dst_sel:DWORD dst_unused:UNUSED_PAD src0_sel:DWORD src1_sel:WORD_1
	v_mul_f16_sdwa v43, v14, v38 dst_sel:DWORD dst_unused:UNUSED_PAD src0_sel:DWORD src1_sel:WORD_1
	;; [unrolled: 1-line block ×9, first 2 shown]
	v_sub_f16_e32 v62, v29, v27
	v_add_f16_e32 v63, v31, v29
	v_add_f16_e32 v29, v29, v27
	v_fmac_f16_e32 v41, v14, v38
	v_fma_f16 v14, v15, v38, -v43
	v_fmac_f16_e32 v47, v4, v42
	v_fma_f16 v4, v8, v42, -v48
	v_mul_f16_sdwa v33, v24, v36 dst_sel:DWORD dst_unused:UNUSED_PAD src0_sel:DWORD src1_sel:WORD_1
	v_add_f16_e32 v52, v13, v53
	v_sub_f16_e32 v56, v30, v28
	v_add_f16_e32 v58, v44, v30
	v_add_f16_e32 v30, v30, v28
	;; [unrolled: 1-line block ×4, first 2 shown]
	v_sub_f16_e32 v55, v55, v59
	v_fma_f16 v24, v24, v36, -v32
	v_fmac_f16_e32 v34, v17, v37
	v_fma_f16 v17, v23, v37, -v35
	v_fmac_f16_e32 v45, v16, v39
	v_fma_f16 v15, v22, v39, -v46
	v_fmac_f16_e32 v31, -0.5, v29
	v_add_f16_e32 v37, v14, v4
	v_add_f16_e32 v54, v53, v57
	v_fmac_f16_e32 v33, v18, v36
	v_add_f16_e32 v8, v52, v57
	v_add_f16_e32 v16, v58, v28
	v_fmac_f16_e32 v44, -0.5, v30
	v_add_f16_e32 v18, v60, v59
	v_fmac_f16_e32 v51, -0.5, v61
	v_add_f16_e32 v22, v63, v27
	v_add_f16_e32 v23, v11, v34
	;; [unrolled: 1-line block ×3, first 2 shown]
	v_sub_f16_e32 v28, v17, v15
	v_add_f16_e32 v29, v12, v17
	v_add_f16_e32 v17, v17, v15
	v_sub_f16_e32 v30, v34, v45
	v_add_f16_e32 v34, v41, v47
	v_add_f16_e32 v36, v24, v14
	v_sub_f16_e32 v38, v41, v47
	v_fmamk_f16 v43, v55, 0x3aee, v31
	v_fmac_f16_e32 v31, 0xbaee, v55
	v_fmac_f16_e32 v24, -0.5, v37
	v_sub_f16_e32 v53, v53, v57
	v_fmac_f16_e32 v13, -0.5, v54
	v_add_f16_e32 v32, v33, v41
	v_sub_f16_e32 v35, v14, v4
	v_fmamk_f16 v42, v62, 0xbaee, v51
	v_fmac_f16_e32 v51, 0x3aee, v62
	v_add_f16_e32 v46, v8, v18
	v_add_f16_e32 v48, v16, v22
	v_sub_f16_e32 v8, v8, v18
	v_sub_f16_e32 v18, v16, v22
	v_add_f16_e32 v14, v23, v45
	v_fmac_f16_e32 v11, -0.5, v27
	v_fmac_f16_e32 v12, -0.5, v17
	;; [unrolled: 1-line block ×3, first 2 shown]
	v_mul_f16_e32 v22, 0xbaee, v43
	v_mul_f16_e32 v23, 0xbaee, v31
	v_mul_f16_e32 v27, 0.5, v43
	v_mul_f16_e32 v34, -0.5, v31
	v_fmamk_f16 v31, v38, 0x3aee, v24
	v_fmac_f16_e32 v24, 0xbaee, v38
	v_fmamk_f16 v39, v56, 0xbaee, v13
	v_fmac_f16_e32 v13, 0x3aee, v56
	;; [unrolled: 2-line block ×3, first 2 shown]
	v_add_f16_e32 v15, v29, v15
	v_add_f16_e32 v16, v32, v47
	v_pack_b32_f16 v37, v8, v18
	v_fmamk_f16 v18, v28, 0xbaee, v11
	v_fmac_f16_e32 v11, 0x3aee, v28
	v_fmamk_f16 v28, v30, 0x3aee, v12
	v_fmac_f16_e32 v12, 0xbaee, v30
	;; [unrolled: 2-line block ×3, first 2 shown]
	v_fmac_f16_e32 v22, 0.5, v42
	v_fmac_f16_e32 v23, -0.5, v51
	v_fmac_f16_e32 v27, 0x3aee, v42
	v_fmac_f16_e32 v34, 0x3aee, v51
	v_mul_f16_e32 v29, 0xbaee, v31
	v_mul_f16_e32 v30, 0xbaee, v24
	v_mul_f16_e32 v31, 0.5, v31
	v_mul_f16_e32 v32, -0.5, v24
	v_add_f16_e32 v17, v36, v4
	v_add_f16_e32 v24, v39, v22
	;; [unrolled: 1-line block ×5, first 2 shown]
	v_sub_f16_e32 v22, v39, v22
	v_sub_f16_e32 v13, v13, v23
	v_sub_f16_e32 v23, v41, v27
	v_sub_f16_e32 v27, v44, v34
	v_fmac_f16_e32 v29, 0.5, v43
	v_fmac_f16_e32 v30, -0.5, v33
	v_fmac_f16_e32 v31, 0x3aee, v43
	v_fmac_f16_e32 v32, 0x3aee, v33
	v_pack_b32_f16 v36, v46, v48
	v_sub_f16_e32 v4, v14, v16
	v_sub_f16_e32 v8, v15, v17
	v_pack_b32_f16 v33, v24, v38
	v_pack_b32_f16 v34, v35, v42
	;; [unrolled: 1-line block ×4, first 2 shown]
	v_sub_f16_e32 v23, v18, v29
	v_sub_f16_e32 v22, v11, v30
	;; [unrolled: 1-line block ×4, first 2 shown]
	ds_write2_b32 v40, v36, v33 offset1:90
	ds_write2_b32 v49, v34, v37 offset0:52 offset1:142
	ds_write2_b32 v50, v35, v13 offset0:104 offset1:194
	s_and_saveexec_b32 s2, s1
	s_cbranch_execz .LBB0_25
; %bb.24:
	v_mov_b32_e32 v13, 2
	v_mul_lo_u16 v25, 0x21c, v25
	v_add_f16_e32 v28, v28, v31
	v_add_f16_e32 v15, v15, v17
	;; [unrolled: 1-line block ×3, first 2 shown]
	v_lshlrev_b32_sdwa v26, v13, v26 dst_sel:DWORD dst_unused:UNUSED_PAD src0_sel:DWORD src1_sel:WORD_0
	v_lshlrev_b32_sdwa v13, v13, v25 dst_sel:DWORD dst_unused:UNUSED_PAD src0_sel:DWORD src1_sel:WORD_0
	v_add_f16_e32 v16, v18, v29
	v_add_f16_e32 v12, v12, v32
	;; [unrolled: 1-line block ×3, first 2 shown]
	v_pack_b32_f16 v14, v14, v15
	v_add3_u32 v13, 0, v26, v13
	v_pack_b32_f16 v15, v16, v28
	v_perm_b32 v17, v8, v4, 0x5040100
	v_pack_b32_f16 v11, v11, v12
	v_perm_b32 v16, v27, v23, 0x5040100
	v_add_nc_u32_e32 v12, 0x200, v13
	v_perm_b32 v18, v24, v22, 0x5040100
	v_add_nc_u32_e32 v25, 0x400, v13
	ds_write2_b32 v13, v14, v15 offset1:90
	ds_write2_b32 v12, v11, v17 offset0:52 offset1:142
	ds_write2_b32 v25, v16, v18 offset0:104 offset1:194
.LBB0_25:
	s_or_b32 exec_lo, exec_lo, s2
	v_add_nc_u32_e32 v11, 0x800, v0
	v_add_nc_u32_e32 v12, 0xd00, v0
	;; [unrolled: 1-line block ×3, first 2 shown]
	s_waitcnt lgkmcnt(0)
	s_barrier
	buffer_gl0_inv
	ds_read2_b32 v[17:18], v11 offset0:28 offset1:190
	ds_read2_b32 v[15:16], v12 offset0:32 offset1:248
	;; [unrolled: 1-line block ×3, first 2 shown]
	ds_read_b32 v28, v0
	ds_read_b32 v26, v21
	;; [unrolled: 1-line block ×3, first 2 shown]
	s_and_saveexec_b32 s1, s0
	s_cbranch_execz .LBB0_27
; %bb.26:
	ds_read_b32 v4, v19
	ds_read_b32 v22, v0 offset:6264
	ds_read_b32 v23, v0 offset:4104
	s_waitcnt lgkmcnt(2)
	v_lshrrev_b32_e32 v8, 16, v4
	s_waitcnt lgkmcnt(1)
	v_lshrrev_b32_e32 v24, 16, v22
	;; [unrolled: 2-line block ×3, first 2 shown]
.LBB0_27:
	s_or_b32 exec_lo, exec_lo, s1
	v_lshlrev_b32_e32 v11, 1, v3
	v_mov_b32_e32 v12, 0
	s_waitcnt lgkmcnt(5)
	v_lshrrev_b32_e32 v40, 16, v17
	s_waitcnt lgkmcnt(4)
	v_lshrrev_b32_e32 v42, 16, v16
	;; [unrolled: 2-line block ×3, first 2 shown]
	v_lshrrev_b32_e32 v41, 16, v18
	v_lshlrev_b64 v[29:30], 2, v[11:12]
	v_lshlrev_b32_e32 v11, 1, v7
	v_lshrrev_b32_e32 v37, 16, v14
	v_lshrrev_b32_e32 v38, 16, v15
	s_waitcnt lgkmcnt(0)
	v_lshrrev_b32_e32 v36, 16, v25
	v_add_co_u32 v33, s1, s12, v29
	v_lshlrev_b64 v[31:32], 2, v[11:12]
	v_add_co_ci_u32_e64 v34, s1, s13, v30, s1
	v_lshlrev_b32_e32 v11, 1, v10
	v_add_co_u32 v33, s1, 0x800, v33
	v_add_co_ci_u32_e64 v34, s1, 0, v34, s1
	v_lshlrev_b64 v[29:30], 2, v[11:12]
	v_add_co_u32 v11, s1, s12, v31
	v_add_co_ci_u32_e64 v35, s1, s13, v32, s1
	global_load_dwordx2 v[31:32], v[33:34], off offset:72
	v_add_co_u32 v33, s1, 0x800, v11
	v_add_co_ci_u32_e64 v34, s1, 0, v35, s1
	v_add_co_u32 v11, s1, s12, v29
	v_add_co_ci_u32_e64 v35, s1, s13, v30, s1
	global_load_dwordx2 v[29:30], v[33:34], off offset:72
	v_add_co_u32 v33, s1, 0x800, v11
	v_add_co_ci_u32_e64 v34, s1, 0, v35, s1
	v_lshrrev_b32_e32 v11, 16, v28
	v_lshrrev_b32_e32 v35, 16, v26
	global_load_dwordx2 v[33:34], v[33:34], off offset:72
	s_waitcnt vmcnt(0)
	s_barrier
	buffer_gl0_inv
	v_mul_f16_sdwa v43, v31, v40 dst_sel:DWORD dst_unused:UNUSED_PAD src0_sel:WORD_1 src1_sel:DWORD
	v_mul_f16_sdwa v44, v31, v17 dst_sel:DWORD dst_unused:UNUSED_PAD src0_sel:WORD_1 src1_sel:DWORD
	;; [unrolled: 1-line block ×4, first 2 shown]
	v_fmac_f16_e32 v43, v31, v17
	v_fma_f16 v17, v31, v40, -v44
	v_fmac_f16_e32 v45, v32, v16
	v_fma_f16 v32, v32, v42, -v46
	v_mul_f16_sdwa v16, v29, v41 dst_sel:DWORD dst_unused:UNUSED_PAD src0_sel:WORD_1 src1_sel:DWORD
	v_mul_f16_sdwa v31, v29, v18 dst_sel:DWORD dst_unused:UNUSED_PAD src0_sel:WORD_1 src1_sel:DWORD
	;; [unrolled: 1-line block ×4, first 2 shown]
	v_add_f16_e32 v46, v11, v17
	v_fmac_f16_e32 v16, v29, v18
	v_fma_f16 v18, v29, v41, -v31
	v_fmac_f16_e32 v40, v30, v13
	v_fma_f16 v13, v30, v39, -v44
	v_mul_f16_sdwa v29, v33, v38 dst_sel:DWORD dst_unused:UNUSED_PAD src0_sel:WORD_1 src1_sel:DWORD
	v_mul_f16_sdwa v30, v33, v15 dst_sel:DWORD dst_unused:UNUSED_PAD src0_sel:WORD_1 src1_sel:DWORD
	;; [unrolled: 1-line block ×4, first 2 shown]
	v_sub_f16_e32 v44, v17, v32
	v_add_f16_e32 v17, v17, v32
	v_add_f16_e32 v42, v43, v45
	v_fmac_f16_e32 v29, v33, v15
	v_fma_f16 v15, v33, v38, -v30
	v_fmac_f16_e32 v31, v34, v14
	v_fma_f16 v14, v34, v37, -v39
	v_fmac_f16_e32 v11, -0.5, v17
	v_add_f16_e32 v17, v26, v16
	v_add_f16_e32 v33, v16, v40
	;; [unrolled: 1-line block ×4, first 2 shown]
	v_sub_f16_e32 v43, v43, v45
	v_fmac_f16_e32 v28, -0.5, v42
	v_sub_f16_e32 v34, v18, v13
	v_add_f16_e32 v18, v18, v13
	v_sub_f16_e32 v16, v16, v40
	v_add_f16_e32 v17, v17, v40
	v_fmac_f16_e32 v26, -0.5, v33
	v_add_f16_e32 v13, v37, v13
	v_add_f16_e32 v33, v29, v31
	v_sub_f16_e32 v37, v15, v14
	v_add_f16_e32 v40, v36, v15
	v_add_f16_e32 v15, v15, v14
	;; [unrolled: 1-line block ×4, first 2 shown]
	v_fmamk_f16 v38, v44, 0xbaee, v28
	v_fmamk_f16 v39, v43, 0x3aee, v11
	v_fmac_f16_e32 v35, -0.5, v18
	v_fmac_f16_e32 v28, 0x3aee, v44
	v_fmac_f16_e32 v11, 0xbaee, v43
	v_add_f16_e32 v18, v25, v29
	v_sub_f16_e32 v29, v29, v31
	v_fmac_f16_e32 v25, -0.5, v33
	v_fmac_f16_e32 v36, -0.5, v15
	v_pack_b32_f16 v30, v30, v32
	v_fmamk_f16 v32, v34, 0xbaee, v26
	v_fmac_f16_e32 v26, 0x3aee, v34
	v_fmamk_f16 v34, v16, 0x3aee, v35
	v_pack_b32_f16 v15, v38, v39
	v_fmac_f16_e32 v35, 0xbaee, v16
	v_pack_b32_f16 v11, v28, v11
	v_add_f16_e32 v16, v18, v31
	v_add_f16_e32 v14, v40, v14
	v_pack_b32_f16 v13, v17, v13
	v_fmamk_f16 v17, v37, 0xbaee, v25
	v_fmamk_f16 v18, v29, 0x3aee, v36
	v_fmac_f16_e32 v25, 0x3aee, v37
	v_fmac_f16_e32 v36, 0xbaee, v29
	ds_write_b32 v0, v30
	ds_write_b32 v0, v15 offset:2160
	ds_write_b32 v0, v11 offset:4320
	ds_write_b32 v21, v13
	v_pack_b32_f16 v11, v32, v34
	v_pack_b32_f16 v13, v26, v35
	;; [unrolled: 1-line block ×5, first 2 shown]
	ds_write_b32 v21, v11 offset:2160
	ds_write_b32 v21, v13 offset:4320
	ds_write_b32 v20, v14
	ds_write_b32 v20, v15 offset:2160
	ds_write_b32 v20, v16 offset:4320
	s_and_saveexec_b32 s1, s0
	s_cbranch_execz .LBB0_29
; %bb.28:
	v_subrev_nc_u32_e32 v11, 54, v3
	v_cndmask_b32_e64 v11, v11, v9, s0
	v_lshlrev_b32_e32 v11, 1, v11
	v_lshlrev_b64 v[11:12], 2, v[11:12]
	v_add_co_u32 v11, s0, s12, v11
	v_add_co_ci_u32_e64 v12, s0, s13, v12, s0
	v_add_co_u32 v11, s0, 0x800, v11
	v_add_co_ci_u32_e64 v12, s0, 0, v12, s0
	global_load_dwordx2 v[11:12], v[11:12], off offset:72
	s_waitcnt vmcnt(0)
	v_mul_f16_sdwa v13, v23, v11 dst_sel:DWORD dst_unused:UNUSED_PAD src0_sel:DWORD src1_sel:WORD_1
	v_mul_f16_sdwa v14, v22, v12 dst_sel:DWORD dst_unused:UNUSED_PAD src0_sel:DWORD src1_sel:WORD_1
	;; [unrolled: 1-line block ×4, first 2 shown]
	v_fma_f16 v13, v27, v11, -v13
	v_fma_f16 v14, v24, v12, -v14
	v_fmac_f16_e32 v15, v23, v11
	v_fmac_f16_e32 v16, v22, v12
	v_add_f16_e32 v18, v8, v13
	v_add_f16_e32 v11, v13, v14
	;; [unrolled: 1-line block ×3, first 2 shown]
	v_sub_f16_e32 v12, v15, v16
	v_add_f16_e32 v15, v4, v15
	v_fma_f16 v8, -0.5, v11, v8
	v_sub_f16_e32 v11, v13, v14
	v_fma_f16 v4, -0.5, v17, v4
	v_add_f16_e32 v13, v18, v14
	v_add_f16_e32 v14, v15, v16
	v_fmamk_f16 v15, v12, 0xbaee, v8
	v_fmac_f16_e32 v8, 0x3aee, v12
	v_fmamk_f16 v12, v11, 0x3aee, v4
	v_fmac_f16_e32 v4, 0xbaee, v11
	v_pack_b32_f16 v11, v14, v13
	v_pack_b32_f16 v4, v4, v8
	;; [unrolled: 1-line block ×3, first 2 shown]
	ds_write_b32 v0, v11 offset:1944
	ds_write_b32 v0, v4 offset:4104
	;; [unrolled: 1-line block ×3, first 2 shown]
.LBB0_29:
	s_or_b32 exec_lo, exec_lo, s1
	s_waitcnt lgkmcnt(0)
	s_barrier
	buffer_gl0_inv
	ds_read_b32 v8, v0
	v_lshlrev_b32_e32 v4, 2, v3
	s_add_u32 s1, s12, 0x1928
	s_addc_u32 s2, s13, 0
	s_mov_b32 s3, exec_lo
                                        ; implicit-def: $vgpr14
                                        ; implicit-def: $vgpr13
	v_sub_nc_u32_e32 v12, 0, v4
                                        ; implicit-def: $vgpr4
	v_cmpx_ne_u32_e32 0, v3
	s_xor_b32 s3, exec_lo, s3
	s_cbranch_execz .LBB0_31
; %bb.30:
	v_mov_b32_e32 v4, 0
	ds_read_b32 v11, v12 offset:6480
	v_lshlrev_b64 v[13:14], 2, v[3:4]
	v_add_co_u32 v13, s0, s1, v13
	v_add_co_ci_u32_e64 v14, s0, s2, v14, s0
	global_load_dword v4, v[13:14], off
	s_waitcnt lgkmcnt(0)
	v_pk_add_f16 v13, v8, v11 neg_lo:[0,1] neg_hi:[0,1]
	v_pk_add_f16 v8, v11, v8
	v_bfi_b32 v11, 0xffff, v13, v8
	v_bfi_b32 v8, 0xffff, v8, v13
	v_pk_mul_f16 v11, v11, 0.5 op_sel_hi:[1,0]
	v_pk_mul_f16 v14, v8, 0.5 op_sel_hi:[1,0]
	s_waitcnt vmcnt(0)
	v_pk_mul_f16 v13, v4, v11 op_sel:[1,0]
	v_pk_mul_f16 v11, v4, v11 op_sel_hi:[0,1]
	v_pk_fma_f16 v4, v8, 0.5, v13 op_sel_hi:[1,0,1]
	v_sub_f16_e32 v8, v14, v13
	v_sub_f16_sdwa v13, v13, v14 dst_sel:DWORD dst_unused:UNUSED_PAD src0_sel:WORD_1 src1_sel:WORD_1
	v_pk_add_f16 v15, v4, v11 op_sel:[0,1] op_sel_hi:[1,0]
	v_pk_add_f16 v16, v4, v11 op_sel:[0,1] op_sel_hi:[1,0] neg_lo:[0,1] neg_hi:[0,1]
	v_sub_f16_sdwa v4, v8, v11 dst_sel:DWORD dst_unused:UNUSED_PAD src0_sel:DWORD src1_sel:WORD_1
	v_sub_f16_e32 v13, v13, v11
                                        ; implicit-def: $vgpr8
	v_bfi_b32 v14, 0xffff, v15, v16
.LBB0_31:
	s_andn2_saveexec_b32 s0, s3
	s_cbranch_execz .LBB0_33
; %bb.32:
	v_mov_b32_e32 v13, 0
	s_waitcnt lgkmcnt(0)
	v_alignbit_b32 v4, s0, v8, 16
	ds_read_u16 v11, v13 offset:3242
	v_pk_add_f16 v14, v4, v8
	v_sub_f16_sdwa v4, v8, v8 dst_sel:DWORD dst_unused:UNUSED_PAD src0_sel:DWORD src1_sel:WORD_1
	v_pack_b32_f16 v14, v14, 0
	s_waitcnt lgkmcnt(0)
	v_xor_b32_e32 v8, 0x8000, v11
	ds_write_b16 v13, v8 offset:3242
.LBB0_33:
	s_or_b32 exec_lo, exec_lo, s0
	s_waitcnt lgkmcnt(0)
	v_mov_b32_e32 v8, 0
	v_lshlrev_b64 v[15:16], 2, v[7:8]
	v_mov_b32_e32 v11, v8
	v_add_nc_u32_e32 v7, 0x288, v3
	v_lshlrev_b64 v[10:11], 2, v[10:11]
	v_add_co_u32 v15, s0, s1, v15
	v_add_co_ci_u32_e64 v16, s0, s2, v16, s0
	v_add_co_u32 v10, s0, s1, v10
	global_load_dword v15, v[15:16], off
	v_add_co_ci_u32_e64 v11, s0, s2, v11, s0
	global_load_dword v11, v[10:11], off
	v_mov_b32_e32 v10, v8
	v_lshlrev_b64 v[9:10], 2, v[9:10]
	v_add_co_u32 v9, s0, s1, v9
	v_add_co_ci_u32_e64 v10, s0, s2, v10, s0
	global_load_dword v16, v[9:10], off
	v_lshlrev_b64 v[9:10], 2, v[7:8]
	v_add_co_u32 v9, s0, s1, v9
	v_add_co_ci_u32_e64 v10, s0, s2, v10, s0
	global_load_dword v7, v[9:10], off
	ds_write_b16 v12, v13 offset:6482
	ds_write_b32 v0, v14
	ds_write_b16 v12, v4 offset:6480
	ds_read_b32 v4, v21
	ds_read_b32 v9, v12 offset:5832
	s_waitcnt lgkmcnt(0)
	v_pk_add_f16 v10, v4, v9 neg_lo:[0,1] neg_hi:[0,1]
	v_pk_add_f16 v4, v4, v9
	v_bfi_b32 v9, 0xffff, v10, v4
	v_bfi_b32 v4, 0xffff, v4, v10
	v_pk_mul_f16 v9, v9, 0.5 op_sel_hi:[1,0]
	v_pk_mul_f16 v4, v4, 0.5 op_sel_hi:[1,0]
	s_waitcnt vmcnt(3)
	v_pk_fma_f16 v10, v15, v9, v4 op_sel:[1,0,0]
	v_pk_mul_f16 v13, v15, v9 op_sel_hi:[0,1]
	v_pk_fma_f16 v14, v15, v9, v4 op_sel:[1,0,0] neg_lo:[1,0,0] neg_hi:[1,0,0]
	v_pk_fma_f16 v4, v15, v9, v4 op_sel:[1,0,0] neg_lo:[0,0,1] neg_hi:[0,0,1]
	v_pk_add_f16 v9, v10, v13 op_sel:[0,1] op_sel_hi:[1,0]
	v_pk_add_f16 v10, v10, v13 op_sel:[0,1] op_sel_hi:[1,0] neg_lo:[0,1] neg_hi:[0,1]
	v_pk_add_f16 v14, v14, v13 op_sel:[0,1] op_sel_hi:[1,0] neg_lo:[0,1] neg_hi:[0,1]
	;; [unrolled: 1-line block ×3, first 2 shown]
	v_bfi_b32 v9, 0xffff, v9, v10
	v_bfi_b32 v4, 0xffff, v14, v4
	ds_write_b32 v21, v9
	ds_write_b32 v12, v4 offset:5832
	ds_read_b32 v4, v20
	ds_read_b32 v9, v12 offset:5184
	s_waitcnt lgkmcnt(0)
	v_pk_add_f16 v10, v4, v9 neg_lo:[0,1] neg_hi:[0,1]
	v_pk_add_f16 v4, v4, v9
	v_bfi_b32 v9, 0xffff, v10, v4
	v_bfi_b32 v4, 0xffff, v4, v10
	v_pk_mul_f16 v9, v9, 0.5 op_sel_hi:[1,0]
	v_pk_mul_f16 v4, v4, 0.5 op_sel_hi:[1,0]
	s_waitcnt vmcnt(2)
	v_pk_mul_f16 v13, v11, v9 op_sel_hi:[0,1]
	v_pk_fma_f16 v10, v11, v9, v4 op_sel:[1,0,0]
	v_pk_fma_f16 v14, v11, v9, v4 op_sel:[1,0,0] neg_lo:[1,0,0] neg_hi:[1,0,0]
	v_pk_fma_f16 v4, v11, v9, v4 op_sel:[1,0,0] neg_lo:[0,0,1] neg_hi:[0,0,1]
	v_pk_add_f16 v9, v10, v13 op_sel:[0,1] op_sel_hi:[1,0]
	v_pk_add_f16 v10, v10, v13 op_sel:[0,1] op_sel_hi:[1,0] neg_lo:[0,1] neg_hi:[0,1]
	v_pk_add_f16 v11, v14, v13 op_sel:[0,1] op_sel_hi:[1,0] neg_lo:[0,1] neg_hi:[0,1]
	;; [unrolled: 1-line block ×3, first 2 shown]
	v_bfi_b32 v9, 0xffff, v9, v10
	v_bfi_b32 v4, 0xffff, v11, v4
	ds_write_b32 v20, v9
	ds_write_b32 v12, v4 offset:5184
	ds_read_b32 v4, v19
	ds_read_b32 v9, v12 offset:4536
	s_waitcnt lgkmcnt(0)
	v_pk_add_f16 v10, v4, v9 neg_lo:[0,1] neg_hi:[0,1]
	v_pk_add_f16 v4, v4, v9
	v_bfi_b32 v9, 0xffff, v10, v4
	v_bfi_b32 v4, 0xffff, v4, v10
	v_pk_mul_f16 v9, v9, 0.5 op_sel_hi:[1,0]
	v_pk_mul_f16 v4, v4, 0.5 op_sel_hi:[1,0]
	s_waitcnt vmcnt(1)
	v_pk_mul_f16 v11, v16, v9 op_sel_hi:[0,1]
	v_pk_fma_f16 v10, v16, v9, v4 op_sel:[1,0,0]
	v_pk_fma_f16 v13, v16, v9, v4 op_sel:[1,0,0] neg_lo:[1,0,0] neg_hi:[1,0,0]
	v_pk_fma_f16 v4, v16, v9, v4 op_sel:[1,0,0] neg_lo:[0,0,1] neg_hi:[0,0,1]
	v_pk_add_f16 v9, v10, v11 op_sel:[0,1] op_sel_hi:[1,0]
	v_pk_add_f16 v10, v10, v11 op_sel:[0,1] op_sel_hi:[1,0] neg_lo:[0,1] neg_hi:[0,1]
	v_pk_add_f16 v13, v13, v11 op_sel:[0,1] op_sel_hi:[1,0] neg_lo:[0,1] neg_hi:[0,1]
	;; [unrolled: 1-line block ×3, first 2 shown]
	v_bfi_b32 v9, 0xffff, v9, v10
	v_bfi_b32 v4, 0xffff, v13, v4
	ds_write_b32 v19, v9
	ds_write_b32 v12, v4 offset:4536
	ds_read_b32 v4, v0 offset:2592
	ds_read_b32 v9, v12 offset:3888
	s_waitcnt lgkmcnt(0)
	v_pk_add_f16 v10, v4, v9 neg_lo:[0,1] neg_hi:[0,1]
	v_pk_add_f16 v4, v4, v9
	v_bfi_b32 v9, 0xffff, v10, v4
	v_bfi_b32 v4, 0xffff, v4, v10
	v_pk_mul_f16 v9, v9, 0.5 op_sel_hi:[1,0]
	v_pk_mul_f16 v4, v4, 0.5 op_sel_hi:[1,0]
	s_waitcnt vmcnt(0)
	v_pk_mul_f16 v11, v7, v9 op_sel_hi:[0,1]
	v_pk_fma_f16 v10, v7, v9, v4 op_sel:[1,0,0]
	v_pk_fma_f16 v13, v7, v9, v4 op_sel:[1,0,0] neg_lo:[1,0,0] neg_hi:[1,0,0]
	v_pk_fma_f16 v4, v7, v9, v4 op_sel:[1,0,0] neg_lo:[0,0,1] neg_hi:[0,0,1]
	v_pk_add_f16 v7, v10, v11 op_sel:[0,1] op_sel_hi:[1,0]
	v_pk_add_f16 v9, v10, v11 op_sel:[0,1] op_sel_hi:[1,0] neg_lo:[0,1] neg_hi:[0,1]
	v_pk_add_f16 v10, v13, v11 op_sel:[0,1] op_sel_hi:[1,0] neg_lo:[0,1] neg_hi:[0,1]
	v_pk_add_f16 v4, v4, v11 op_sel:[0,1] op_sel_hi:[1,0] neg_lo:[0,1] neg_hi:[0,1]
	v_bfi_b32 v7, 0xffff, v7, v9
	v_bfi_b32 v4, 0xffff, v10, v4
	ds_write_b32 v0, v7 offset:2592
	ds_write_b32 v12, v4 offset:3888
	s_waitcnt lgkmcnt(0)
	s_barrier
	buffer_gl0_inv
	s_and_saveexec_b32 s0, vcc_lo
	s_cbranch_execz .LBB0_36
; %bb.34:
	v_mul_lo_u32 v0, s5, v5
	v_mul_lo_u32 v7, s4, v6
	v_mad_u64_u32 v[5:6], null, s4, v5, 0
	v_lshl_add_u32 v23, v3, 2, 0
	v_mov_b32_e32 v4, v8
	ds_read2_b32 v[9:10], v23 offset1:162
	v_add3_u32 v6, v6, v7, v0
	v_lshlrev_b64 v[0:1], 2, v[1:2]
	v_add_nc_u32_e32 v2, 0x400, v23
	v_add_nc_u32_e32 v7, 0xa2, v3
	v_lshlrev_b64 v[11:12], 2, v[3:4]
	v_lshlrev_b64 v[5:6], 2, v[5:6]
	ds_read2_b32 v[15:16], v2 offset0:68 offset1:230
	v_lshlrev_b64 v[13:14], 2, v[7:8]
	v_add_nc_u32_e32 v7, 0x144, v3
	v_add_co_u32 v2, vcc_lo, s10, v5
	v_add_co_ci_u32_e32 v6, vcc_lo, s11, v6, vcc_lo
	v_lshlrev_b64 v[4:5], 2, v[7:8]
	v_add_co_u32 v0, vcc_lo, v2, v0
	v_add_co_ci_u32_e32 v1, vcc_lo, v6, v1, vcc_lo
	v_add_nc_u32_e32 v7, 0x1e6, v3
	v_add_nc_u32_e32 v2, 0xa00, v23
	v_add_co_u32 v11, vcc_lo, v0, v11
	v_add_co_ci_u32_e32 v12, vcc_lo, v1, v12, vcc_lo
	v_add_co_u32 v13, vcc_lo, v0, v13
	v_lshlrev_b64 v[17:18], 2, v[7:8]
	v_add_nc_u32_e32 v7, 0x288, v3
	ds_read2_b32 v[19:20], v2 offset0:8 offset1:170
	v_add_co_ci_u32_e32 v14, vcc_lo, v1, v14, vcc_lo
	v_add_co_u32 v4, vcc_lo, v0, v4
	v_add_co_ci_u32_e32 v5, vcc_lo, v1, v5, vcc_lo
	v_lshlrev_b64 v[21:22], 2, v[7:8]
	v_add_nc_u32_e32 v7, 0x32a, v3
	v_add_co_u32 v17, vcc_lo, v0, v17
	v_add_co_ci_u32_e32 v18, vcc_lo, v1, v18, vcc_lo
	s_waitcnt lgkmcnt(2)
	global_store_dword v[11:12], v9, off
	global_store_dword v[13:14], v10, off
	s_waitcnt lgkmcnt(1)
	global_store_dword v[4:5], v15, off
	global_store_dword v[17:18], v16, off
	v_lshlrev_b64 v[4:5], 2, v[7:8]
	v_add_nc_u32_e32 v7, 0x3cc, v3
	v_add_co_u32 v9, vcc_lo, v0, v21
	v_add_co_ci_u32_e32 v10, vcc_lo, v1, v22, vcc_lo
	v_lshlrev_b64 v[11:12], 2, v[7:8]
	v_add_nc_u32_e32 v7, 0x46e, v3
	v_add_co_u32 v4, vcc_lo, v0, v4
	v_add_co_ci_u32_e32 v5, vcc_lo, v1, v5, vcc_lo
	v_add_nc_u32_e32 v2, 0xe00, v23
	s_waitcnt lgkmcnt(0)
	global_store_dword v[9:10], v19, off
	v_lshlrev_b64 v[9:10], 2, v[7:8]
	v_add_nc_u32_e32 v7, 0x510, v3
	v_add_nc_u32_e32 v6, 0x1400, v23
	global_store_dword v[4:5], v20, off
	ds_read2_b32 v[4:5], v2 offset0:76 offset1:238
	v_add_co_u32 v11, vcc_lo, v0, v11
	v_lshlrev_b64 v[15:16], 2, v[7:8]
	v_add_nc_u32_e32 v7, 0x5b2, v3
	ds_read2_b32 v[13:14], v6 offset0:16 offset1:178
	v_add_co_ci_u32_e32 v12, vcc_lo, v1, v12, vcc_lo
	v_add_co_u32 v9, vcc_lo, v0, v9
	v_lshlrev_b64 v[6:7], 2, v[7:8]
	v_add_co_ci_u32_e32 v10, vcc_lo, v1, v10, vcc_lo
	v_add_co_u32 v15, vcc_lo, v0, v15
	v_add_co_ci_u32_e32 v16, vcc_lo, v1, v16, vcc_lo
	v_add_co_u32 v6, vcc_lo, v0, v6
	v_add_co_ci_u32_e32 v7, vcc_lo, v1, v7, vcc_lo
	v_cmp_eq_u32_e32 vcc_lo, 0xa1, v3
	s_waitcnt lgkmcnt(1)
	global_store_dword v[11:12], v4, off
	global_store_dword v[9:10], v5, off
	s_waitcnt lgkmcnt(0)
	global_store_dword v[15:16], v13, off
	global_store_dword v[6:7], v14, off
	s_and_b32 exec_lo, exec_lo, vcc_lo
	s_cbranch_execz .LBB0_36
; %bb.35:
	v_mov_b32_e32 v2, 0
	v_add_co_u32 v0, vcc_lo, 0x1800, v0
	v_add_co_ci_u32_e32 v1, vcc_lo, 0, v1, vcc_lo
	ds_read_b32 v2, v2 offset:6480
	s_waitcnt lgkmcnt(0)
	global_store_dword v[0:1], v2, off offset:336
.LBB0_36:
	s_endpgm
	.section	.rodata,"a",@progbits
	.p2align	6, 0x0
	.amdhsa_kernel fft_rtc_back_len1620_factors_10_3_3_6_3_wgs_162_tpt_162_halfLds_half_op_CI_CI_unitstride_sbrr_R2C_dirReg
		.amdhsa_group_segment_fixed_size 0
		.amdhsa_private_segment_fixed_size 0
		.amdhsa_kernarg_size 104
		.amdhsa_user_sgpr_count 6
		.amdhsa_user_sgpr_private_segment_buffer 1
		.amdhsa_user_sgpr_dispatch_ptr 0
		.amdhsa_user_sgpr_queue_ptr 0
		.amdhsa_user_sgpr_kernarg_segment_ptr 1
		.amdhsa_user_sgpr_dispatch_id 0
		.amdhsa_user_sgpr_flat_scratch_init 0
		.amdhsa_user_sgpr_private_segment_size 0
		.amdhsa_wavefront_size32 1
		.amdhsa_uses_dynamic_stack 0
		.amdhsa_system_sgpr_private_segment_wavefront_offset 0
		.amdhsa_system_sgpr_workgroup_id_x 1
		.amdhsa_system_sgpr_workgroup_id_y 0
		.amdhsa_system_sgpr_workgroup_id_z 0
		.amdhsa_system_sgpr_workgroup_info 0
		.amdhsa_system_vgpr_workitem_id 0
		.amdhsa_next_free_vgpr 64
		.amdhsa_next_free_sgpr 27
		.amdhsa_reserve_vcc 1
		.amdhsa_reserve_flat_scratch 0
		.amdhsa_float_round_mode_32 0
		.amdhsa_float_round_mode_16_64 0
		.amdhsa_float_denorm_mode_32 3
		.amdhsa_float_denorm_mode_16_64 3
		.amdhsa_dx10_clamp 1
		.amdhsa_ieee_mode 1
		.amdhsa_fp16_overflow 0
		.amdhsa_workgroup_processor_mode 1
		.amdhsa_memory_ordered 1
		.amdhsa_forward_progress 0
		.amdhsa_shared_vgpr_count 0
		.amdhsa_exception_fp_ieee_invalid_op 0
		.amdhsa_exception_fp_denorm_src 0
		.amdhsa_exception_fp_ieee_div_zero 0
		.amdhsa_exception_fp_ieee_overflow 0
		.amdhsa_exception_fp_ieee_underflow 0
		.amdhsa_exception_fp_ieee_inexact 0
		.amdhsa_exception_int_div_zero 0
	.end_amdhsa_kernel
	.text
.Lfunc_end0:
	.size	fft_rtc_back_len1620_factors_10_3_3_6_3_wgs_162_tpt_162_halfLds_half_op_CI_CI_unitstride_sbrr_R2C_dirReg, .Lfunc_end0-fft_rtc_back_len1620_factors_10_3_3_6_3_wgs_162_tpt_162_halfLds_half_op_CI_CI_unitstride_sbrr_R2C_dirReg
                                        ; -- End function
	.section	.AMDGPU.csdata,"",@progbits
; Kernel info:
; codeLenInByte = 9744
; NumSgprs: 29
; NumVgprs: 64
; ScratchSize: 0
; MemoryBound: 0
; FloatMode: 240
; IeeeMode: 1
; LDSByteSize: 0 bytes/workgroup (compile time only)
; SGPRBlocks: 3
; VGPRBlocks: 7
; NumSGPRsForWavesPerEU: 29
; NumVGPRsForWavesPerEU: 64
; Occupancy: 15
; WaveLimiterHint : 1
; COMPUTE_PGM_RSRC2:SCRATCH_EN: 0
; COMPUTE_PGM_RSRC2:USER_SGPR: 6
; COMPUTE_PGM_RSRC2:TRAP_HANDLER: 0
; COMPUTE_PGM_RSRC2:TGID_X_EN: 1
; COMPUTE_PGM_RSRC2:TGID_Y_EN: 0
; COMPUTE_PGM_RSRC2:TGID_Z_EN: 0
; COMPUTE_PGM_RSRC2:TIDIG_COMP_CNT: 0
	.text
	.p2alignl 6, 3214868480
	.fill 48, 4, 3214868480
	.type	__hip_cuid_db87714c28064c,@object ; @__hip_cuid_db87714c28064c
	.section	.bss,"aw",@nobits
	.globl	__hip_cuid_db87714c28064c
__hip_cuid_db87714c28064c:
	.byte	0                               ; 0x0
	.size	__hip_cuid_db87714c28064c, 1

	.ident	"AMD clang version 19.0.0git (https://github.com/RadeonOpenCompute/llvm-project roc-6.4.0 25133 c7fe45cf4b819c5991fe208aaa96edf142730f1d)"
	.section	".note.GNU-stack","",@progbits
	.addrsig
	.addrsig_sym __hip_cuid_db87714c28064c
	.amdgpu_metadata
---
amdhsa.kernels:
  - .args:
      - .actual_access:  read_only
        .address_space:  global
        .offset:         0
        .size:           8
        .value_kind:     global_buffer
      - .offset:         8
        .size:           8
        .value_kind:     by_value
      - .actual_access:  read_only
        .address_space:  global
        .offset:         16
        .size:           8
        .value_kind:     global_buffer
      - .actual_access:  read_only
        .address_space:  global
        .offset:         24
        .size:           8
        .value_kind:     global_buffer
      - .actual_access:  read_only
        .address_space:  global
        .offset:         32
        .size:           8
        .value_kind:     global_buffer
      - .offset:         40
        .size:           8
        .value_kind:     by_value
      - .actual_access:  read_only
        .address_space:  global
        .offset:         48
        .size:           8
        .value_kind:     global_buffer
      - .actual_access:  read_only
        .address_space:  global
        .offset:         56
        .size:           8
        .value_kind:     global_buffer
      - .offset:         64
        .size:           4
        .value_kind:     by_value
      - .actual_access:  read_only
        .address_space:  global
        .offset:         72
        .size:           8
        .value_kind:     global_buffer
      - .actual_access:  read_only
        .address_space:  global
        .offset:         80
        .size:           8
        .value_kind:     global_buffer
      - .actual_access:  read_only
        .address_space:  global
        .offset:         88
        .size:           8
        .value_kind:     global_buffer
      - .actual_access:  write_only
        .address_space:  global
        .offset:         96
        .size:           8
        .value_kind:     global_buffer
    .group_segment_fixed_size: 0
    .kernarg_segment_align: 8
    .kernarg_segment_size: 104
    .language:       OpenCL C
    .language_version:
      - 2
      - 0
    .max_flat_workgroup_size: 162
    .name:           fft_rtc_back_len1620_factors_10_3_3_6_3_wgs_162_tpt_162_halfLds_half_op_CI_CI_unitstride_sbrr_R2C_dirReg
    .private_segment_fixed_size: 0
    .sgpr_count:     29
    .sgpr_spill_count: 0
    .symbol:         fft_rtc_back_len1620_factors_10_3_3_6_3_wgs_162_tpt_162_halfLds_half_op_CI_CI_unitstride_sbrr_R2C_dirReg.kd
    .uniform_work_group_size: 1
    .uses_dynamic_stack: false
    .vgpr_count:     64
    .vgpr_spill_count: 0
    .wavefront_size: 32
    .workgroup_processor_mode: 1
amdhsa.target:   amdgcn-amd-amdhsa--gfx1030
amdhsa.version:
  - 1
  - 2
...

	.end_amdgpu_metadata
